;; amdgpu-corpus repo=zjin-lcf/HeCBench kind=compiled arch=gfx906 opt=O3
	.amdgcn_target "amdgcn-amd-amdhsa--gfx906"
	.amdhsa_code_object_version 6
	.section	.text._Z14ChannelSumNCHWIiLi1ELi128EEviiiPKT_PS0_S3_,"axG",@progbits,_Z14ChannelSumNCHWIiLi1ELi128EEviiiPKT_PS0_S3_,comdat
	.protected	_Z14ChannelSumNCHWIiLi1ELi128EEviiiPKT_PS0_S3_ ; -- Begin function _Z14ChannelSumNCHWIiLi1ELi128EEviiiPKT_PS0_S3_
	.globl	_Z14ChannelSumNCHWIiLi1ELi128EEviiiPKT_PS0_S3_
	.p2align	8
	.type	_Z14ChannelSumNCHWIiLi1ELi128EEviiiPKT_PS0_S3_,@function
_Z14ChannelSumNCHWIiLi1ELi128EEviiiPKT_PS0_S3_: ; @_Z14ChannelSumNCHWIiLi1ELi128EEviiiPKT_PS0_S3_
; %bb.0:
	s_load_dwordx4 s[12:15], s[4:5], 0x0
                                        ; implicit-def: $sgpr7
	s_waitcnt lgkmcnt(0)
	v_cmp_le_i32_e32 vcc, s12, v0
	s_and_saveexec_b64 s[0:1], vcc
	s_xor_b64 s[0:1], exec, s[0:1]
	s_cbranch_execz .LBB0_2
; %bb.1:
	s_load_dword s2, s[4:5], 0x34
	s_waitcnt lgkmcnt(0)
	s_and_b32 s7, s2, 0xffff
.LBB0_2:
	s_or_saveexec_b64 s[2:3], s[0:1]
	s_load_dwordx4 s[8:11], s[4:5], 0x18
	v_mov_b32_e32 v2, 0
	v_mov_b32_e32 v5, s7
	;; [unrolled: 1-line block ×3, first 2 shown]
	s_xor_b64 exec, exec, s[2:3]
	s_cbranch_execz .LBB0_10
; %bb.3:
	v_mul_lo_u32 v2, v0, s13
	s_load_dwordx2 s[16:17], s[4:5], 0x10
	s_load_dword s0, s[4:5], 0x34
	s_add_u32 s4, s4, 40
	s_addc_u32 s5, s5, 0
	v_add_u32_e32 v2, s6, v2
	v_mul_lo_u32 v5, s14, v2
	s_waitcnt lgkmcnt(0)
	s_and_b32 s7, s0, 0xffff
	s_mul_i32 s13, s14, s13
	v_cmp_gt_i32_e32 vcc, s14, v1
	s_mul_i32 s13, s13, s7
	v_mov_b32_e32 v2, 0
	s_mov_b64 s[18:19], 0
	v_mov_b32_e32 v6, v0
	v_mov_b32_e32 v4, 0
	s_branch .LBB0_5
.LBB0_4:                                ;   in Loop: Header=BB0_5 Depth=1
	s_or_b64 exec, exec, s[20:21]
	v_add_u32_e32 v6, s7, v6
	v_cmp_le_i32_e64 s[0:1], s12, v6
	s_or_b64 s[18:19], s[0:1], s[18:19]
	v_add_u32_e32 v5, s13, v5
	s_andn2_b64 exec, exec, s[18:19]
	s_cbranch_execz .LBB0_9
.LBB0_5:                                ; =>This Loop Header: Depth=1
                                        ;     Child Loop BB0_7 Depth 2
	s_and_saveexec_b64 s[20:21], vcc
	s_cbranch_execz .LBB0_4
; %bb.6:                                ;   in Loop: Header=BB0_5 Depth=1
	s_load_dword s0, s[4:5], 0xc
	s_mov_b64 s[22:23], 0
	v_mov_b32_e32 v7, v1
	s_waitcnt lgkmcnt(0)
	s_lshr_b32 s15, s0, 16
.LBB0_7:                                ;   Parent Loop BB0_5 Depth=1
                                        ; =>  This Inner Loop Header: Depth=2
	v_add_u32_e32 v8, v5, v7
	v_ashrrev_i32_e32 v9, 31, v8
	v_lshlrev_b64 v[8:9], 2, v[8:9]
	v_mov_b32_e32 v3, s17
	v_add_co_u32_e64 v8, s[0:1], s16, v8
	v_addc_co_u32_e64 v9, s[0:1], v3, v9, s[0:1]
	global_load_dword v8, v[8:9], off
	v_add_u32_e32 v7, s15, v7
	s_waitcnt vmcnt(0)
	v_mad_u64_u32 v[2:3], s[0:1], v8, v8, v[2:3]
	v_cmp_le_i32_e64 s[0:1], s14, v7
	s_or_b64 s[22:23], s[0:1], s[22:23]
	v_add_u32_e32 v4, v8, v4
	s_andn2_b64 exec, exec, s[22:23]
	s_cbranch_execnz .LBB0_7
; %bb.8:                                ;   in Loop: Header=BB0_5 Depth=1
	s_or_b64 exec, exec, s[22:23]
	s_branch .LBB0_4
.LBB0_9:
	s_or_b64 exec, exec, s[18:19]
	v_mov_b32_e32 v5, s7
.LBB0_10:
	s_or_b64 exec, exec, s[2:3]
	v_mbcnt_lo_u32_b32 v3, -1, 0
	v_mbcnt_hi_u32_b32 v6, -1, v3
	v_mad_u32_u24 v8, v1, v5, v0
	v_add_u32_dpp v3, v4, v4 quad_perm:[1,0,3,2] row_mask:0xf bank_mask:0xf bound_ctrl:1
	v_lshlrev_b32_e32 v4, 2, v6
	v_or_b32_e32 v7, 0xfc, v4
	v_add_u32_dpp v3, v3, v3 quad_perm:[2,3,0,1] row_mask:0xf bank_mask:0xf bound_ctrl:1
	v_cmp_eq_u32_e32 vcc, 0, v6
	v_lshrrev_b32_e32 v5, 4, v8
	v_add_u32_dpp v3, v3, v3 row_ror:4 row_mask:0xf bank_mask:0xf bound_ctrl:1
	s_nop 1
	v_add_u32_dpp v3, v3, v3 row_ror:8 row_mask:0xf bank_mask:0xf bound_ctrl:1
	s_nop 1
	v_add_u32_dpp v3, v3, v3 row_bcast:15 row_mask:0xf bank_mask:0xf bound_ctrl:1
	s_nop 1
	v_add_u32_dpp v3, v3, v3 row_bcast:31 row_mask:0xf bank_mask:0xf bound_ctrl:1
	ds_bpermute_b32 v3, v7, v3
	s_and_saveexec_b64 s[0:1], vcc
	s_cbranch_execz .LBB0_12
; %bb.11:
	v_and_b32_e32 v9, 0xffffffc, v5
	s_waitcnt lgkmcnt(0)
	ds_write_b32 v9, v3
.LBB0_12:
	s_or_b64 exec, exec, s[0:1]
	v_cmp_gt_u32_e64 s[0:1], 64, v8
	v_and_b32_e32 v6, 1, v6
	v_or_b32_e32 v4, 4, v4
	s_waitcnt lgkmcnt(0)
	s_barrier
	s_and_saveexec_b64 s[2:3], s[0:1]
	s_cbranch_execz .LBB0_14
; %bb.13:
	v_lshlrev_b32_e32 v3, 2, v6
	ds_read_b32 v3, v3
	s_waitcnt lgkmcnt(0)
	ds_bpermute_b32 v8, v4, v3
	s_waitcnt lgkmcnt(0)
	v_add_u32_e32 v3, v8, v3
.LBB0_14:
	s_or_b64 exec, exec, s[2:3]
	v_add_u32_dpp v2, v2, v2 quad_perm:[1,0,3,2] row_mask:0xf bank_mask:0xf bound_ctrl:1
	s_nop 1
	v_add_u32_dpp v2, v2, v2 quad_perm:[2,3,0,1] row_mask:0xf bank_mask:0xf bound_ctrl:1
	s_nop 1
	v_add_u32_dpp v2, v2, v2 row_ror:4 row_mask:0xf bank_mask:0xf bound_ctrl:1
	s_nop 1
	v_add_u32_dpp v2, v2, v2 row_ror:8 row_mask:0xf bank_mask:0xf bound_ctrl:1
	s_nop 1
	v_add_u32_dpp v2, v2, v2 row_bcast:15 row_mask:0xf bank_mask:0xf bound_ctrl:1
	s_nop 1
	v_add_u32_dpp v2, v2, v2 row_bcast:31 row_mask:0xf bank_mask:0xf bound_ctrl:1
	ds_bpermute_b32 v2, v7, v2
	s_and_saveexec_b64 s[2:3], vcc
	s_cbranch_execz .LBB0_16
; %bb.15:
	v_and_b32_e32 v5, 0xffffffc, v5
	s_waitcnt lgkmcnt(0)
	ds_write_b32 v5, v2 offset:8
.LBB0_16:
	s_or_b64 exec, exec, s[2:3]
	s_waitcnt lgkmcnt(0)
	s_barrier
	s_and_saveexec_b64 s[2:3], s[0:1]
	s_cbranch_execz .LBB0_18
; %bb.17:
	v_lshlrev_b32_e32 v2, 2, v6
	ds_read_b32 v2, v2 offset:8
	s_waitcnt lgkmcnt(0)
	ds_bpermute_b32 v4, v4, v2
	s_waitcnt lgkmcnt(0)
	v_add_u32_e32 v2, v4, v2
.LBB0_18:
	s_or_b64 exec, exec, s[2:3]
	v_or_b32_e32 v0, v0, v1
	v_cmp_eq_u32_e32 vcc, 0, v0
	s_and_saveexec_b64 s[0:1], vcc
	s_cbranch_execz .LBB0_20
; %bb.19:
	s_ashr_i32 s7, s6, 31
	s_lshl_b64 s[0:1], s[6:7], 2
	s_add_u32 s2, s10, s0
	s_addc_u32 s3, s11, s1
	s_add_u32 s0, s8, s0
	v_mov_b32_e32 v0, 0
	s_addc_u32 s1, s9, s1
	global_store_dword v0, v3, s[0:1]
	global_store_dword v0, v2, s[2:3]
.LBB0_20:
	s_endpgm
	.section	.rodata,"a",@progbits
	.p2align	6, 0x0
	.amdhsa_kernel _Z14ChannelSumNCHWIiLi1ELi128EEviiiPKT_PS0_S3_
		.amdhsa_group_segment_fixed_size 16
		.amdhsa_private_segment_fixed_size 0
		.amdhsa_kernarg_size 296
		.amdhsa_user_sgpr_count 6
		.amdhsa_user_sgpr_private_segment_buffer 1
		.amdhsa_user_sgpr_dispatch_ptr 0
		.amdhsa_user_sgpr_queue_ptr 0
		.amdhsa_user_sgpr_kernarg_segment_ptr 1
		.amdhsa_user_sgpr_dispatch_id 0
		.amdhsa_user_sgpr_flat_scratch_init 0
		.amdhsa_user_sgpr_private_segment_size 0
		.amdhsa_uses_dynamic_stack 0
		.amdhsa_system_sgpr_private_segment_wavefront_offset 0
		.amdhsa_system_sgpr_workgroup_id_x 1
		.amdhsa_system_sgpr_workgroup_id_y 0
		.amdhsa_system_sgpr_workgroup_id_z 0
		.amdhsa_system_sgpr_workgroup_info 0
		.amdhsa_system_vgpr_workitem_id 1
		.amdhsa_next_free_vgpr 10
		.amdhsa_next_free_sgpr 24
		.amdhsa_reserve_vcc 1
		.amdhsa_reserve_flat_scratch 0
		.amdhsa_float_round_mode_32 0
		.amdhsa_float_round_mode_16_64 0
		.amdhsa_float_denorm_mode_32 3
		.amdhsa_float_denorm_mode_16_64 3
		.amdhsa_dx10_clamp 1
		.amdhsa_ieee_mode 1
		.amdhsa_fp16_overflow 0
		.amdhsa_exception_fp_ieee_invalid_op 0
		.amdhsa_exception_fp_denorm_src 0
		.amdhsa_exception_fp_ieee_div_zero 0
		.amdhsa_exception_fp_ieee_overflow 0
		.amdhsa_exception_fp_ieee_underflow 0
		.amdhsa_exception_fp_ieee_inexact 0
		.amdhsa_exception_int_div_zero 0
	.end_amdhsa_kernel
	.section	.text._Z14ChannelSumNCHWIiLi1ELi128EEviiiPKT_PS0_S3_,"axG",@progbits,_Z14ChannelSumNCHWIiLi1ELi128EEviiiPKT_PS0_S3_,comdat
.Lfunc_end0:
	.size	_Z14ChannelSumNCHWIiLi1ELi128EEviiiPKT_PS0_S3_, .Lfunc_end0-_Z14ChannelSumNCHWIiLi1ELi128EEviiiPKT_PS0_S3_
                                        ; -- End function
	.set _Z14ChannelSumNCHWIiLi1ELi128EEviiiPKT_PS0_S3_.num_vgpr, 10
	.set _Z14ChannelSumNCHWIiLi1ELi128EEviiiPKT_PS0_S3_.num_agpr, 0
	.set _Z14ChannelSumNCHWIiLi1ELi128EEviiiPKT_PS0_S3_.numbered_sgpr, 24
	.set _Z14ChannelSumNCHWIiLi1ELi128EEviiiPKT_PS0_S3_.num_named_barrier, 0
	.set _Z14ChannelSumNCHWIiLi1ELi128EEviiiPKT_PS0_S3_.private_seg_size, 0
	.set _Z14ChannelSumNCHWIiLi1ELi128EEviiiPKT_PS0_S3_.uses_vcc, 1
	.set _Z14ChannelSumNCHWIiLi1ELi128EEviiiPKT_PS0_S3_.uses_flat_scratch, 0
	.set _Z14ChannelSumNCHWIiLi1ELi128EEviiiPKT_PS0_S3_.has_dyn_sized_stack, 0
	.set _Z14ChannelSumNCHWIiLi1ELi128EEviiiPKT_PS0_S3_.has_recursion, 0
	.set _Z14ChannelSumNCHWIiLi1ELi128EEviiiPKT_PS0_S3_.has_indirect_call, 0
	.section	.AMDGPU.csdata,"",@progbits
; Kernel info:
; codeLenInByte = 772
; TotalNumSgprs: 28
; NumVgprs: 10
; ScratchSize: 0
; MemoryBound: 0
; FloatMode: 240
; IeeeMode: 1
; LDSByteSize: 16 bytes/workgroup (compile time only)
; SGPRBlocks: 3
; VGPRBlocks: 2
; NumSGPRsForWavesPerEU: 28
; NumVGPRsForWavesPerEU: 10
; Occupancy: 10
; WaveLimiterHint : 0
; COMPUTE_PGM_RSRC2:SCRATCH_EN: 0
; COMPUTE_PGM_RSRC2:USER_SGPR: 6
; COMPUTE_PGM_RSRC2:TRAP_HANDLER: 0
; COMPUTE_PGM_RSRC2:TGID_X_EN: 1
; COMPUTE_PGM_RSRC2:TGID_Y_EN: 0
; COMPUTE_PGM_RSRC2:TGID_Z_EN: 0
; COMPUTE_PGM_RSRC2:TIDIG_COMP_CNT: 1
	.section	.text._Z14ChannelSumNCHWIiLi2ELi64EEviiiPKT_PS0_S3_,"axG",@progbits,_Z14ChannelSumNCHWIiLi2ELi64EEviiiPKT_PS0_S3_,comdat
	.protected	_Z14ChannelSumNCHWIiLi2ELi64EEviiiPKT_PS0_S3_ ; -- Begin function _Z14ChannelSumNCHWIiLi2ELi64EEviiiPKT_PS0_S3_
	.globl	_Z14ChannelSumNCHWIiLi2ELi64EEviiiPKT_PS0_S3_
	.p2align	8
	.type	_Z14ChannelSumNCHWIiLi2ELi64EEviiiPKT_PS0_S3_,@function
_Z14ChannelSumNCHWIiLi2ELi64EEviiiPKT_PS0_S3_: ; @_Z14ChannelSumNCHWIiLi2ELi64EEviiiPKT_PS0_S3_
; %bb.0:
	s_load_dwordx4 s[12:15], s[4:5], 0x0
                                        ; implicit-def: $sgpr7
	s_waitcnt lgkmcnt(0)
	v_cmp_le_i32_e32 vcc, s12, v0
	s_and_saveexec_b64 s[0:1], vcc
	s_xor_b64 s[0:1], exec, s[0:1]
	s_cbranch_execz .LBB1_2
; %bb.1:
	s_load_dword s2, s[4:5], 0x34
	s_waitcnt lgkmcnt(0)
	s_and_b32 s7, s2, 0xffff
.LBB1_2:
	s_or_saveexec_b64 s[2:3], s[0:1]
	s_load_dwordx4 s[8:11], s[4:5], 0x18
	v_mov_b32_e32 v2, 0
	v_mov_b32_e32 v5, s7
	;; [unrolled: 1-line block ×3, first 2 shown]
	s_xor_b64 exec, exec, s[2:3]
	s_cbranch_execz .LBB1_10
; %bb.3:
	v_mul_lo_u32 v2, v0, s13
	s_load_dwordx2 s[16:17], s[4:5], 0x10
	s_load_dword s0, s[4:5], 0x34
	s_add_u32 s4, s4, 40
	s_addc_u32 s5, s5, 0
	v_add_u32_e32 v2, s6, v2
	v_mul_lo_u32 v5, s14, v2
	s_waitcnt lgkmcnt(0)
	s_and_b32 s7, s0, 0xffff
	s_mul_i32 s13, s14, s13
	v_cmp_gt_i32_e32 vcc, s14, v1
	s_mul_i32 s13, s13, s7
	v_mov_b32_e32 v2, 0
	s_mov_b64 s[18:19], 0
	v_mov_b32_e32 v6, v0
	v_mov_b32_e32 v4, 0
	s_branch .LBB1_5
.LBB1_4:                                ;   in Loop: Header=BB1_5 Depth=1
	s_or_b64 exec, exec, s[20:21]
	v_add_u32_e32 v6, s7, v6
	v_cmp_le_i32_e64 s[0:1], s12, v6
	s_or_b64 s[18:19], s[0:1], s[18:19]
	v_add_u32_e32 v5, s13, v5
	s_andn2_b64 exec, exec, s[18:19]
	s_cbranch_execz .LBB1_9
.LBB1_5:                                ; =>This Loop Header: Depth=1
                                        ;     Child Loop BB1_7 Depth 2
	s_and_saveexec_b64 s[20:21], vcc
	s_cbranch_execz .LBB1_4
; %bb.6:                                ;   in Loop: Header=BB1_5 Depth=1
	s_load_dword s0, s[4:5], 0xc
	s_mov_b64 s[22:23], 0
	v_mov_b32_e32 v7, v1
	s_waitcnt lgkmcnt(0)
	s_lshr_b32 s15, s0, 16
.LBB1_7:                                ;   Parent Loop BB1_5 Depth=1
                                        ; =>  This Inner Loop Header: Depth=2
	v_add_u32_e32 v8, v5, v7
	v_ashrrev_i32_e32 v9, 31, v8
	v_lshlrev_b64 v[8:9], 2, v[8:9]
	v_mov_b32_e32 v3, s17
	v_add_co_u32_e64 v8, s[0:1], s16, v8
	v_addc_co_u32_e64 v9, s[0:1], v3, v9, s[0:1]
	global_load_dword v8, v[8:9], off
	v_add_u32_e32 v7, s15, v7
	s_waitcnt vmcnt(0)
	v_mad_u64_u32 v[2:3], s[0:1], v8, v8, v[2:3]
	v_cmp_le_i32_e64 s[0:1], s14, v7
	s_or_b64 s[22:23], s[0:1], s[22:23]
	v_add_u32_e32 v4, v8, v4
	s_andn2_b64 exec, exec, s[22:23]
	s_cbranch_execnz .LBB1_7
; %bb.8:                                ;   in Loop: Header=BB1_5 Depth=1
	s_or_b64 exec, exec, s[22:23]
	s_branch .LBB1_4
.LBB1_9:
	s_or_b64 exec, exec, s[18:19]
	v_mov_b32_e32 v5, s7
.LBB1_10:
	s_or_b64 exec, exec, s[2:3]
	v_mbcnt_lo_u32_b32 v3, -1, 0
	v_mbcnt_hi_u32_b32 v6, -1, v3
	v_mad_u32_u24 v8, v1, v5, v0
	v_add_u32_dpp v3, v4, v4 quad_perm:[1,0,3,2] row_mask:0xf bank_mask:0xf bound_ctrl:1
	v_lshlrev_b32_e32 v4, 2, v6
	v_or_b32_e32 v7, 0xfc, v4
	v_add_u32_dpp v3, v3, v3 quad_perm:[2,3,0,1] row_mask:0xf bank_mask:0xf bound_ctrl:1
	v_cmp_eq_u32_e32 vcc, 0, v6
	v_lshrrev_b32_e32 v5, 4, v8
	v_add_u32_dpp v3, v3, v3 row_ror:4 row_mask:0xf bank_mask:0xf bound_ctrl:1
	s_nop 1
	v_add_u32_dpp v3, v3, v3 row_ror:8 row_mask:0xf bank_mask:0xf bound_ctrl:1
	s_nop 1
	v_add_u32_dpp v3, v3, v3 row_bcast:15 row_mask:0xf bank_mask:0xf bound_ctrl:1
	s_nop 1
	v_add_u32_dpp v3, v3, v3 row_bcast:31 row_mask:0xf bank_mask:0xf bound_ctrl:1
	ds_bpermute_b32 v3, v7, v3
	s_and_saveexec_b64 s[0:1], vcc
	s_cbranch_execz .LBB1_12
; %bb.11:
	v_and_b32_e32 v9, 0xffffffc, v5
	s_waitcnt lgkmcnt(0)
	ds_write_b32 v9, v3
.LBB1_12:
	s_or_b64 exec, exec, s[0:1]
	v_cmp_gt_u32_e64 s[0:1], 64, v8
	v_and_b32_e32 v6, 1, v6
	v_or_b32_e32 v4, 4, v4
	s_waitcnt lgkmcnt(0)
	s_barrier
	s_and_saveexec_b64 s[2:3], s[0:1]
	s_cbranch_execz .LBB1_14
; %bb.13:
	v_lshlrev_b32_e32 v3, 2, v6
	ds_read_b32 v3, v3
	s_waitcnt lgkmcnt(0)
	ds_bpermute_b32 v8, v4, v3
	s_waitcnt lgkmcnt(0)
	v_add_u32_e32 v3, v8, v3
.LBB1_14:
	s_or_b64 exec, exec, s[2:3]
	v_add_u32_dpp v2, v2, v2 quad_perm:[1,0,3,2] row_mask:0xf bank_mask:0xf bound_ctrl:1
	s_nop 1
	v_add_u32_dpp v2, v2, v2 quad_perm:[2,3,0,1] row_mask:0xf bank_mask:0xf bound_ctrl:1
	s_nop 1
	v_add_u32_dpp v2, v2, v2 row_ror:4 row_mask:0xf bank_mask:0xf bound_ctrl:1
	s_nop 1
	v_add_u32_dpp v2, v2, v2 row_ror:8 row_mask:0xf bank_mask:0xf bound_ctrl:1
	s_nop 1
	v_add_u32_dpp v2, v2, v2 row_bcast:15 row_mask:0xf bank_mask:0xf bound_ctrl:1
	s_nop 1
	v_add_u32_dpp v2, v2, v2 row_bcast:31 row_mask:0xf bank_mask:0xf bound_ctrl:1
	ds_bpermute_b32 v2, v7, v2
	s_and_saveexec_b64 s[2:3], vcc
	s_cbranch_execz .LBB1_16
; %bb.15:
	v_and_b32_e32 v5, 0xffffffc, v5
	s_waitcnt lgkmcnt(0)
	ds_write_b32 v5, v2 offset:8
.LBB1_16:
	s_or_b64 exec, exec, s[2:3]
	s_waitcnt lgkmcnt(0)
	s_barrier
	s_and_saveexec_b64 s[2:3], s[0:1]
	s_cbranch_execz .LBB1_18
; %bb.17:
	v_lshlrev_b32_e32 v2, 2, v6
	ds_read_b32 v2, v2 offset:8
	s_waitcnt lgkmcnt(0)
	ds_bpermute_b32 v4, v4, v2
	s_waitcnt lgkmcnt(0)
	v_add_u32_e32 v2, v4, v2
.LBB1_18:
	s_or_b64 exec, exec, s[2:3]
	v_or_b32_e32 v0, v0, v1
	v_cmp_eq_u32_e32 vcc, 0, v0
	s_and_saveexec_b64 s[0:1], vcc
	s_cbranch_execz .LBB1_20
; %bb.19:
	s_ashr_i32 s7, s6, 31
	s_lshl_b64 s[0:1], s[6:7], 2
	s_add_u32 s2, s10, s0
	s_addc_u32 s3, s11, s1
	s_add_u32 s0, s8, s0
	v_mov_b32_e32 v0, 0
	s_addc_u32 s1, s9, s1
	global_store_dword v0, v3, s[0:1]
	global_store_dword v0, v2, s[2:3]
.LBB1_20:
	s_endpgm
	.section	.rodata,"a",@progbits
	.p2align	6, 0x0
	.amdhsa_kernel _Z14ChannelSumNCHWIiLi2ELi64EEviiiPKT_PS0_S3_
		.amdhsa_group_segment_fixed_size 16
		.amdhsa_private_segment_fixed_size 0
		.amdhsa_kernarg_size 296
		.amdhsa_user_sgpr_count 6
		.amdhsa_user_sgpr_private_segment_buffer 1
		.amdhsa_user_sgpr_dispatch_ptr 0
		.amdhsa_user_sgpr_queue_ptr 0
		.amdhsa_user_sgpr_kernarg_segment_ptr 1
		.amdhsa_user_sgpr_dispatch_id 0
		.amdhsa_user_sgpr_flat_scratch_init 0
		.amdhsa_user_sgpr_private_segment_size 0
		.amdhsa_uses_dynamic_stack 0
		.amdhsa_system_sgpr_private_segment_wavefront_offset 0
		.amdhsa_system_sgpr_workgroup_id_x 1
		.amdhsa_system_sgpr_workgroup_id_y 0
		.amdhsa_system_sgpr_workgroup_id_z 0
		.amdhsa_system_sgpr_workgroup_info 0
		.amdhsa_system_vgpr_workitem_id 1
		.amdhsa_next_free_vgpr 10
		.amdhsa_next_free_sgpr 24
		.amdhsa_reserve_vcc 1
		.amdhsa_reserve_flat_scratch 0
		.amdhsa_float_round_mode_32 0
		.amdhsa_float_round_mode_16_64 0
		.amdhsa_float_denorm_mode_32 3
		.amdhsa_float_denorm_mode_16_64 3
		.amdhsa_dx10_clamp 1
		.amdhsa_ieee_mode 1
		.amdhsa_fp16_overflow 0
		.amdhsa_exception_fp_ieee_invalid_op 0
		.amdhsa_exception_fp_denorm_src 0
		.amdhsa_exception_fp_ieee_div_zero 0
		.amdhsa_exception_fp_ieee_overflow 0
		.amdhsa_exception_fp_ieee_underflow 0
		.amdhsa_exception_fp_ieee_inexact 0
		.amdhsa_exception_int_div_zero 0
	.end_amdhsa_kernel
	.section	.text._Z14ChannelSumNCHWIiLi2ELi64EEviiiPKT_PS0_S3_,"axG",@progbits,_Z14ChannelSumNCHWIiLi2ELi64EEviiiPKT_PS0_S3_,comdat
.Lfunc_end1:
	.size	_Z14ChannelSumNCHWIiLi2ELi64EEviiiPKT_PS0_S3_, .Lfunc_end1-_Z14ChannelSumNCHWIiLi2ELi64EEviiiPKT_PS0_S3_
                                        ; -- End function
	.set _Z14ChannelSumNCHWIiLi2ELi64EEviiiPKT_PS0_S3_.num_vgpr, 10
	.set _Z14ChannelSumNCHWIiLi2ELi64EEviiiPKT_PS0_S3_.num_agpr, 0
	.set _Z14ChannelSumNCHWIiLi2ELi64EEviiiPKT_PS0_S3_.numbered_sgpr, 24
	.set _Z14ChannelSumNCHWIiLi2ELi64EEviiiPKT_PS0_S3_.num_named_barrier, 0
	.set _Z14ChannelSumNCHWIiLi2ELi64EEviiiPKT_PS0_S3_.private_seg_size, 0
	.set _Z14ChannelSumNCHWIiLi2ELi64EEviiiPKT_PS0_S3_.uses_vcc, 1
	.set _Z14ChannelSumNCHWIiLi2ELi64EEviiiPKT_PS0_S3_.uses_flat_scratch, 0
	.set _Z14ChannelSumNCHWIiLi2ELi64EEviiiPKT_PS0_S3_.has_dyn_sized_stack, 0
	.set _Z14ChannelSumNCHWIiLi2ELi64EEviiiPKT_PS0_S3_.has_recursion, 0
	.set _Z14ChannelSumNCHWIiLi2ELi64EEviiiPKT_PS0_S3_.has_indirect_call, 0
	.section	.AMDGPU.csdata,"",@progbits
; Kernel info:
; codeLenInByte = 772
; TotalNumSgprs: 28
; NumVgprs: 10
; ScratchSize: 0
; MemoryBound: 0
; FloatMode: 240
; IeeeMode: 1
; LDSByteSize: 16 bytes/workgroup (compile time only)
; SGPRBlocks: 3
; VGPRBlocks: 2
; NumSGPRsForWavesPerEU: 28
; NumVGPRsForWavesPerEU: 10
; Occupancy: 10
; WaveLimiterHint : 0
; COMPUTE_PGM_RSRC2:SCRATCH_EN: 0
; COMPUTE_PGM_RSRC2:USER_SGPR: 6
; COMPUTE_PGM_RSRC2:TRAP_HANDLER: 0
; COMPUTE_PGM_RSRC2:TGID_X_EN: 1
; COMPUTE_PGM_RSRC2:TGID_Y_EN: 0
; COMPUTE_PGM_RSRC2:TGID_Z_EN: 0
; COMPUTE_PGM_RSRC2:TIDIG_COMP_CNT: 1
	.section	.text._Z14ChannelSumNCHWIiLi4ELi32EEviiiPKT_PS0_S3_,"axG",@progbits,_Z14ChannelSumNCHWIiLi4ELi32EEviiiPKT_PS0_S3_,comdat
	.protected	_Z14ChannelSumNCHWIiLi4ELi32EEviiiPKT_PS0_S3_ ; -- Begin function _Z14ChannelSumNCHWIiLi4ELi32EEviiiPKT_PS0_S3_
	.globl	_Z14ChannelSumNCHWIiLi4ELi32EEviiiPKT_PS0_S3_
	.p2align	8
	.type	_Z14ChannelSumNCHWIiLi4ELi32EEviiiPKT_PS0_S3_,@function
_Z14ChannelSumNCHWIiLi4ELi32EEviiiPKT_PS0_S3_: ; @_Z14ChannelSumNCHWIiLi4ELi32EEviiiPKT_PS0_S3_
; %bb.0:
	s_load_dwordx4 s[12:15], s[4:5], 0x0
                                        ; implicit-def: $sgpr7
	s_waitcnt lgkmcnt(0)
	v_cmp_le_i32_e32 vcc, s12, v0
	s_and_saveexec_b64 s[0:1], vcc
	s_xor_b64 s[0:1], exec, s[0:1]
	s_cbranch_execz .LBB2_2
; %bb.1:
	s_load_dword s2, s[4:5], 0x34
	s_waitcnt lgkmcnt(0)
	s_and_b32 s7, s2, 0xffff
.LBB2_2:
	s_or_saveexec_b64 s[2:3], s[0:1]
	s_load_dwordx4 s[8:11], s[4:5], 0x18
	v_mov_b32_e32 v2, 0
	v_mov_b32_e32 v5, s7
	;; [unrolled: 1-line block ×3, first 2 shown]
	s_xor_b64 exec, exec, s[2:3]
	s_cbranch_execz .LBB2_10
; %bb.3:
	v_mul_lo_u32 v2, v0, s13
	s_load_dwordx2 s[16:17], s[4:5], 0x10
	s_load_dword s0, s[4:5], 0x34
	s_add_u32 s4, s4, 40
	s_addc_u32 s5, s5, 0
	v_add_u32_e32 v2, s6, v2
	v_mul_lo_u32 v5, s14, v2
	s_waitcnt lgkmcnt(0)
	s_and_b32 s7, s0, 0xffff
	s_mul_i32 s13, s14, s13
	v_cmp_gt_i32_e32 vcc, s14, v1
	s_mul_i32 s13, s13, s7
	v_mov_b32_e32 v2, 0
	s_mov_b64 s[18:19], 0
	v_mov_b32_e32 v6, v0
	v_mov_b32_e32 v4, 0
	s_branch .LBB2_5
.LBB2_4:                                ;   in Loop: Header=BB2_5 Depth=1
	s_or_b64 exec, exec, s[20:21]
	v_add_u32_e32 v6, s7, v6
	v_cmp_le_i32_e64 s[0:1], s12, v6
	s_or_b64 s[18:19], s[0:1], s[18:19]
	v_add_u32_e32 v5, s13, v5
	s_andn2_b64 exec, exec, s[18:19]
	s_cbranch_execz .LBB2_9
.LBB2_5:                                ; =>This Loop Header: Depth=1
                                        ;     Child Loop BB2_7 Depth 2
	s_and_saveexec_b64 s[20:21], vcc
	s_cbranch_execz .LBB2_4
; %bb.6:                                ;   in Loop: Header=BB2_5 Depth=1
	s_load_dword s0, s[4:5], 0xc
	s_mov_b64 s[22:23], 0
	v_mov_b32_e32 v7, v1
	s_waitcnt lgkmcnt(0)
	s_lshr_b32 s15, s0, 16
.LBB2_7:                                ;   Parent Loop BB2_5 Depth=1
                                        ; =>  This Inner Loop Header: Depth=2
	v_add_u32_e32 v8, v5, v7
	v_ashrrev_i32_e32 v9, 31, v8
	v_lshlrev_b64 v[8:9], 2, v[8:9]
	v_mov_b32_e32 v3, s17
	v_add_co_u32_e64 v8, s[0:1], s16, v8
	v_addc_co_u32_e64 v9, s[0:1], v3, v9, s[0:1]
	global_load_dword v8, v[8:9], off
	v_add_u32_e32 v7, s15, v7
	s_waitcnt vmcnt(0)
	v_mad_u64_u32 v[2:3], s[0:1], v8, v8, v[2:3]
	v_cmp_le_i32_e64 s[0:1], s14, v7
	s_or_b64 s[22:23], s[0:1], s[22:23]
	v_add_u32_e32 v4, v8, v4
	s_andn2_b64 exec, exec, s[22:23]
	s_cbranch_execnz .LBB2_7
; %bb.8:                                ;   in Loop: Header=BB2_5 Depth=1
	s_or_b64 exec, exec, s[22:23]
	s_branch .LBB2_4
.LBB2_9:
	s_or_b64 exec, exec, s[18:19]
	v_mov_b32_e32 v5, s7
.LBB2_10:
	s_or_b64 exec, exec, s[2:3]
	v_mbcnt_lo_u32_b32 v3, -1, 0
	v_mbcnt_hi_u32_b32 v6, -1, v3
	v_mad_u32_u24 v8, v1, v5, v0
	v_add_u32_dpp v3, v4, v4 quad_perm:[1,0,3,2] row_mask:0xf bank_mask:0xf bound_ctrl:1
	v_lshlrev_b32_e32 v4, 2, v6
	v_or_b32_e32 v7, 0xfc, v4
	v_add_u32_dpp v3, v3, v3 quad_perm:[2,3,0,1] row_mask:0xf bank_mask:0xf bound_ctrl:1
	v_cmp_eq_u32_e32 vcc, 0, v6
	v_lshrrev_b32_e32 v5, 4, v8
	v_add_u32_dpp v3, v3, v3 row_ror:4 row_mask:0xf bank_mask:0xf bound_ctrl:1
	s_nop 1
	v_add_u32_dpp v3, v3, v3 row_ror:8 row_mask:0xf bank_mask:0xf bound_ctrl:1
	s_nop 1
	v_add_u32_dpp v3, v3, v3 row_bcast:15 row_mask:0xf bank_mask:0xf bound_ctrl:1
	s_nop 1
	v_add_u32_dpp v3, v3, v3 row_bcast:31 row_mask:0xf bank_mask:0xf bound_ctrl:1
	ds_bpermute_b32 v3, v7, v3
	s_and_saveexec_b64 s[0:1], vcc
	s_cbranch_execz .LBB2_12
; %bb.11:
	v_and_b32_e32 v9, 0xffffffc, v5
	s_waitcnt lgkmcnt(0)
	ds_write_b32 v9, v3
.LBB2_12:
	s_or_b64 exec, exec, s[0:1]
	v_cmp_gt_u32_e64 s[0:1], 64, v8
	v_and_b32_e32 v6, 1, v6
	v_or_b32_e32 v4, 4, v4
	s_waitcnt lgkmcnt(0)
	s_barrier
	s_and_saveexec_b64 s[2:3], s[0:1]
	s_cbranch_execz .LBB2_14
; %bb.13:
	v_lshlrev_b32_e32 v3, 2, v6
	ds_read_b32 v3, v3
	s_waitcnt lgkmcnt(0)
	ds_bpermute_b32 v8, v4, v3
	s_waitcnt lgkmcnt(0)
	v_add_u32_e32 v3, v8, v3
.LBB2_14:
	s_or_b64 exec, exec, s[2:3]
	v_add_u32_dpp v2, v2, v2 quad_perm:[1,0,3,2] row_mask:0xf bank_mask:0xf bound_ctrl:1
	s_nop 1
	v_add_u32_dpp v2, v2, v2 quad_perm:[2,3,0,1] row_mask:0xf bank_mask:0xf bound_ctrl:1
	s_nop 1
	v_add_u32_dpp v2, v2, v2 row_ror:4 row_mask:0xf bank_mask:0xf bound_ctrl:1
	s_nop 1
	v_add_u32_dpp v2, v2, v2 row_ror:8 row_mask:0xf bank_mask:0xf bound_ctrl:1
	s_nop 1
	v_add_u32_dpp v2, v2, v2 row_bcast:15 row_mask:0xf bank_mask:0xf bound_ctrl:1
	s_nop 1
	v_add_u32_dpp v2, v2, v2 row_bcast:31 row_mask:0xf bank_mask:0xf bound_ctrl:1
	ds_bpermute_b32 v2, v7, v2
	s_and_saveexec_b64 s[2:3], vcc
	s_cbranch_execz .LBB2_16
; %bb.15:
	v_and_b32_e32 v5, 0xffffffc, v5
	s_waitcnt lgkmcnt(0)
	ds_write_b32 v5, v2 offset:8
.LBB2_16:
	s_or_b64 exec, exec, s[2:3]
	s_waitcnt lgkmcnt(0)
	s_barrier
	s_and_saveexec_b64 s[2:3], s[0:1]
	s_cbranch_execz .LBB2_18
; %bb.17:
	v_lshlrev_b32_e32 v2, 2, v6
	ds_read_b32 v2, v2 offset:8
	s_waitcnt lgkmcnt(0)
	ds_bpermute_b32 v4, v4, v2
	s_waitcnt lgkmcnt(0)
	v_add_u32_e32 v2, v4, v2
.LBB2_18:
	s_or_b64 exec, exec, s[2:3]
	v_or_b32_e32 v0, v0, v1
	v_cmp_eq_u32_e32 vcc, 0, v0
	s_and_saveexec_b64 s[0:1], vcc
	s_cbranch_execz .LBB2_20
; %bb.19:
	s_ashr_i32 s7, s6, 31
	s_lshl_b64 s[0:1], s[6:7], 2
	s_add_u32 s2, s10, s0
	s_addc_u32 s3, s11, s1
	s_add_u32 s0, s8, s0
	v_mov_b32_e32 v0, 0
	s_addc_u32 s1, s9, s1
	global_store_dword v0, v3, s[0:1]
	global_store_dword v0, v2, s[2:3]
.LBB2_20:
	s_endpgm
	.section	.rodata,"a",@progbits
	.p2align	6, 0x0
	.amdhsa_kernel _Z14ChannelSumNCHWIiLi4ELi32EEviiiPKT_PS0_S3_
		.amdhsa_group_segment_fixed_size 16
		.amdhsa_private_segment_fixed_size 0
		.amdhsa_kernarg_size 296
		.amdhsa_user_sgpr_count 6
		.amdhsa_user_sgpr_private_segment_buffer 1
		.amdhsa_user_sgpr_dispatch_ptr 0
		.amdhsa_user_sgpr_queue_ptr 0
		.amdhsa_user_sgpr_kernarg_segment_ptr 1
		.amdhsa_user_sgpr_dispatch_id 0
		.amdhsa_user_sgpr_flat_scratch_init 0
		.amdhsa_user_sgpr_private_segment_size 0
		.amdhsa_uses_dynamic_stack 0
		.amdhsa_system_sgpr_private_segment_wavefront_offset 0
		.amdhsa_system_sgpr_workgroup_id_x 1
		.amdhsa_system_sgpr_workgroup_id_y 0
		.amdhsa_system_sgpr_workgroup_id_z 0
		.amdhsa_system_sgpr_workgroup_info 0
		.amdhsa_system_vgpr_workitem_id 1
		.amdhsa_next_free_vgpr 10
		.amdhsa_next_free_sgpr 24
		.amdhsa_reserve_vcc 1
		.amdhsa_reserve_flat_scratch 0
		.amdhsa_float_round_mode_32 0
		.amdhsa_float_round_mode_16_64 0
		.amdhsa_float_denorm_mode_32 3
		.amdhsa_float_denorm_mode_16_64 3
		.amdhsa_dx10_clamp 1
		.amdhsa_ieee_mode 1
		.amdhsa_fp16_overflow 0
		.amdhsa_exception_fp_ieee_invalid_op 0
		.amdhsa_exception_fp_denorm_src 0
		.amdhsa_exception_fp_ieee_div_zero 0
		.amdhsa_exception_fp_ieee_overflow 0
		.amdhsa_exception_fp_ieee_underflow 0
		.amdhsa_exception_fp_ieee_inexact 0
		.amdhsa_exception_int_div_zero 0
	.end_amdhsa_kernel
	.section	.text._Z14ChannelSumNCHWIiLi4ELi32EEviiiPKT_PS0_S3_,"axG",@progbits,_Z14ChannelSumNCHWIiLi4ELi32EEviiiPKT_PS0_S3_,comdat
.Lfunc_end2:
	.size	_Z14ChannelSumNCHWIiLi4ELi32EEviiiPKT_PS0_S3_, .Lfunc_end2-_Z14ChannelSumNCHWIiLi4ELi32EEviiiPKT_PS0_S3_
                                        ; -- End function
	.set _Z14ChannelSumNCHWIiLi4ELi32EEviiiPKT_PS0_S3_.num_vgpr, 10
	.set _Z14ChannelSumNCHWIiLi4ELi32EEviiiPKT_PS0_S3_.num_agpr, 0
	.set _Z14ChannelSumNCHWIiLi4ELi32EEviiiPKT_PS0_S3_.numbered_sgpr, 24
	.set _Z14ChannelSumNCHWIiLi4ELi32EEviiiPKT_PS0_S3_.num_named_barrier, 0
	.set _Z14ChannelSumNCHWIiLi4ELi32EEviiiPKT_PS0_S3_.private_seg_size, 0
	.set _Z14ChannelSumNCHWIiLi4ELi32EEviiiPKT_PS0_S3_.uses_vcc, 1
	.set _Z14ChannelSumNCHWIiLi4ELi32EEviiiPKT_PS0_S3_.uses_flat_scratch, 0
	.set _Z14ChannelSumNCHWIiLi4ELi32EEviiiPKT_PS0_S3_.has_dyn_sized_stack, 0
	.set _Z14ChannelSumNCHWIiLi4ELi32EEviiiPKT_PS0_S3_.has_recursion, 0
	.set _Z14ChannelSumNCHWIiLi4ELi32EEviiiPKT_PS0_S3_.has_indirect_call, 0
	.section	.AMDGPU.csdata,"",@progbits
; Kernel info:
; codeLenInByte = 772
; TotalNumSgprs: 28
; NumVgprs: 10
; ScratchSize: 0
; MemoryBound: 0
; FloatMode: 240
; IeeeMode: 1
; LDSByteSize: 16 bytes/workgroup (compile time only)
; SGPRBlocks: 3
; VGPRBlocks: 2
; NumSGPRsForWavesPerEU: 28
; NumVGPRsForWavesPerEU: 10
; Occupancy: 10
; WaveLimiterHint : 0
; COMPUTE_PGM_RSRC2:SCRATCH_EN: 0
; COMPUTE_PGM_RSRC2:USER_SGPR: 6
; COMPUTE_PGM_RSRC2:TRAP_HANDLER: 0
; COMPUTE_PGM_RSRC2:TGID_X_EN: 1
; COMPUTE_PGM_RSRC2:TGID_Y_EN: 0
; COMPUTE_PGM_RSRC2:TGID_Z_EN: 0
; COMPUTE_PGM_RSRC2:TIDIG_COMP_CNT: 1
	.section	.text._Z14ChannelSumNCHWIiLi8ELi16EEviiiPKT_PS0_S3_,"axG",@progbits,_Z14ChannelSumNCHWIiLi8ELi16EEviiiPKT_PS0_S3_,comdat
	.protected	_Z14ChannelSumNCHWIiLi8ELi16EEviiiPKT_PS0_S3_ ; -- Begin function _Z14ChannelSumNCHWIiLi8ELi16EEviiiPKT_PS0_S3_
	.globl	_Z14ChannelSumNCHWIiLi8ELi16EEviiiPKT_PS0_S3_
	.p2align	8
	.type	_Z14ChannelSumNCHWIiLi8ELi16EEviiiPKT_PS0_S3_,@function
_Z14ChannelSumNCHWIiLi8ELi16EEviiiPKT_PS0_S3_: ; @_Z14ChannelSumNCHWIiLi8ELi16EEviiiPKT_PS0_S3_
; %bb.0:
	s_load_dwordx4 s[12:15], s[4:5], 0x0
                                        ; implicit-def: $sgpr7
	s_waitcnt lgkmcnt(0)
	v_cmp_le_i32_e32 vcc, s12, v0
	s_and_saveexec_b64 s[0:1], vcc
	s_xor_b64 s[0:1], exec, s[0:1]
	s_cbranch_execz .LBB3_2
; %bb.1:
	s_load_dword s2, s[4:5], 0x34
	s_waitcnt lgkmcnt(0)
	s_and_b32 s7, s2, 0xffff
.LBB3_2:
	s_or_saveexec_b64 s[2:3], s[0:1]
	s_load_dwordx4 s[8:11], s[4:5], 0x18
	v_mov_b32_e32 v2, 0
	v_mov_b32_e32 v5, s7
	;; [unrolled: 1-line block ×3, first 2 shown]
	s_xor_b64 exec, exec, s[2:3]
	s_cbranch_execz .LBB3_10
; %bb.3:
	v_mul_lo_u32 v2, v0, s13
	s_load_dwordx2 s[16:17], s[4:5], 0x10
	s_load_dword s0, s[4:5], 0x34
	s_add_u32 s4, s4, 40
	s_addc_u32 s5, s5, 0
	v_add_u32_e32 v2, s6, v2
	v_mul_lo_u32 v5, s14, v2
	s_waitcnt lgkmcnt(0)
	s_and_b32 s7, s0, 0xffff
	s_mul_i32 s13, s14, s13
	v_cmp_gt_i32_e32 vcc, s14, v1
	s_mul_i32 s13, s13, s7
	v_mov_b32_e32 v2, 0
	s_mov_b64 s[18:19], 0
	v_mov_b32_e32 v6, v0
	v_mov_b32_e32 v4, 0
	s_branch .LBB3_5
.LBB3_4:                                ;   in Loop: Header=BB3_5 Depth=1
	s_or_b64 exec, exec, s[20:21]
	v_add_u32_e32 v6, s7, v6
	v_cmp_le_i32_e64 s[0:1], s12, v6
	s_or_b64 s[18:19], s[0:1], s[18:19]
	v_add_u32_e32 v5, s13, v5
	s_andn2_b64 exec, exec, s[18:19]
	s_cbranch_execz .LBB3_9
.LBB3_5:                                ; =>This Loop Header: Depth=1
                                        ;     Child Loop BB3_7 Depth 2
	s_and_saveexec_b64 s[20:21], vcc
	s_cbranch_execz .LBB3_4
; %bb.6:                                ;   in Loop: Header=BB3_5 Depth=1
	s_load_dword s0, s[4:5], 0xc
	s_mov_b64 s[22:23], 0
	v_mov_b32_e32 v7, v1
	s_waitcnt lgkmcnt(0)
	s_lshr_b32 s15, s0, 16
.LBB3_7:                                ;   Parent Loop BB3_5 Depth=1
                                        ; =>  This Inner Loop Header: Depth=2
	v_add_u32_e32 v8, v5, v7
	v_ashrrev_i32_e32 v9, 31, v8
	v_lshlrev_b64 v[8:9], 2, v[8:9]
	v_mov_b32_e32 v3, s17
	v_add_co_u32_e64 v8, s[0:1], s16, v8
	v_addc_co_u32_e64 v9, s[0:1], v3, v9, s[0:1]
	global_load_dword v8, v[8:9], off
	v_add_u32_e32 v7, s15, v7
	s_waitcnt vmcnt(0)
	v_mad_u64_u32 v[2:3], s[0:1], v8, v8, v[2:3]
	v_cmp_le_i32_e64 s[0:1], s14, v7
	s_or_b64 s[22:23], s[0:1], s[22:23]
	v_add_u32_e32 v4, v8, v4
	s_andn2_b64 exec, exec, s[22:23]
	s_cbranch_execnz .LBB3_7
; %bb.8:                                ;   in Loop: Header=BB3_5 Depth=1
	s_or_b64 exec, exec, s[22:23]
	s_branch .LBB3_4
.LBB3_9:
	s_or_b64 exec, exec, s[18:19]
	v_mov_b32_e32 v5, s7
.LBB3_10:
	s_or_b64 exec, exec, s[2:3]
	v_mbcnt_lo_u32_b32 v3, -1, 0
	v_mbcnt_hi_u32_b32 v6, -1, v3
	v_mad_u32_u24 v8, v1, v5, v0
	v_add_u32_dpp v3, v4, v4 quad_perm:[1,0,3,2] row_mask:0xf bank_mask:0xf bound_ctrl:1
	v_lshlrev_b32_e32 v4, 2, v6
	v_or_b32_e32 v7, 0xfc, v4
	v_add_u32_dpp v3, v3, v3 quad_perm:[2,3,0,1] row_mask:0xf bank_mask:0xf bound_ctrl:1
	v_cmp_eq_u32_e32 vcc, 0, v6
	v_lshrrev_b32_e32 v5, 4, v8
	v_add_u32_dpp v3, v3, v3 row_ror:4 row_mask:0xf bank_mask:0xf bound_ctrl:1
	s_nop 1
	v_add_u32_dpp v3, v3, v3 row_ror:8 row_mask:0xf bank_mask:0xf bound_ctrl:1
	s_nop 1
	v_add_u32_dpp v3, v3, v3 row_bcast:15 row_mask:0xf bank_mask:0xf bound_ctrl:1
	s_nop 1
	v_add_u32_dpp v3, v3, v3 row_bcast:31 row_mask:0xf bank_mask:0xf bound_ctrl:1
	ds_bpermute_b32 v3, v7, v3
	s_and_saveexec_b64 s[0:1], vcc
	s_cbranch_execz .LBB3_12
; %bb.11:
	v_and_b32_e32 v9, 0xffffffc, v5
	s_waitcnt lgkmcnt(0)
	ds_write_b32 v9, v3
.LBB3_12:
	s_or_b64 exec, exec, s[0:1]
	v_cmp_gt_u32_e64 s[0:1], 64, v8
	v_and_b32_e32 v6, 1, v6
	v_or_b32_e32 v4, 4, v4
	s_waitcnt lgkmcnt(0)
	s_barrier
	s_and_saveexec_b64 s[2:3], s[0:1]
	s_cbranch_execz .LBB3_14
; %bb.13:
	v_lshlrev_b32_e32 v3, 2, v6
	ds_read_b32 v3, v3
	s_waitcnt lgkmcnt(0)
	ds_bpermute_b32 v8, v4, v3
	s_waitcnt lgkmcnt(0)
	v_add_u32_e32 v3, v8, v3
.LBB3_14:
	s_or_b64 exec, exec, s[2:3]
	v_add_u32_dpp v2, v2, v2 quad_perm:[1,0,3,2] row_mask:0xf bank_mask:0xf bound_ctrl:1
	s_nop 1
	v_add_u32_dpp v2, v2, v2 quad_perm:[2,3,0,1] row_mask:0xf bank_mask:0xf bound_ctrl:1
	s_nop 1
	v_add_u32_dpp v2, v2, v2 row_ror:4 row_mask:0xf bank_mask:0xf bound_ctrl:1
	s_nop 1
	v_add_u32_dpp v2, v2, v2 row_ror:8 row_mask:0xf bank_mask:0xf bound_ctrl:1
	s_nop 1
	v_add_u32_dpp v2, v2, v2 row_bcast:15 row_mask:0xf bank_mask:0xf bound_ctrl:1
	s_nop 1
	v_add_u32_dpp v2, v2, v2 row_bcast:31 row_mask:0xf bank_mask:0xf bound_ctrl:1
	ds_bpermute_b32 v2, v7, v2
	s_and_saveexec_b64 s[2:3], vcc
	s_cbranch_execz .LBB3_16
; %bb.15:
	v_and_b32_e32 v5, 0xffffffc, v5
	s_waitcnt lgkmcnt(0)
	ds_write_b32 v5, v2 offset:8
.LBB3_16:
	s_or_b64 exec, exec, s[2:3]
	s_waitcnt lgkmcnt(0)
	s_barrier
	s_and_saveexec_b64 s[2:3], s[0:1]
	s_cbranch_execz .LBB3_18
; %bb.17:
	v_lshlrev_b32_e32 v2, 2, v6
	ds_read_b32 v2, v2 offset:8
	s_waitcnt lgkmcnt(0)
	ds_bpermute_b32 v4, v4, v2
	s_waitcnt lgkmcnt(0)
	v_add_u32_e32 v2, v4, v2
.LBB3_18:
	s_or_b64 exec, exec, s[2:3]
	v_or_b32_e32 v0, v0, v1
	v_cmp_eq_u32_e32 vcc, 0, v0
	s_and_saveexec_b64 s[0:1], vcc
	s_cbranch_execz .LBB3_20
; %bb.19:
	s_ashr_i32 s7, s6, 31
	s_lshl_b64 s[0:1], s[6:7], 2
	s_add_u32 s2, s10, s0
	s_addc_u32 s3, s11, s1
	s_add_u32 s0, s8, s0
	v_mov_b32_e32 v0, 0
	s_addc_u32 s1, s9, s1
	global_store_dword v0, v3, s[0:1]
	global_store_dword v0, v2, s[2:3]
.LBB3_20:
	s_endpgm
	.section	.rodata,"a",@progbits
	.p2align	6, 0x0
	.amdhsa_kernel _Z14ChannelSumNCHWIiLi8ELi16EEviiiPKT_PS0_S3_
		.amdhsa_group_segment_fixed_size 16
		.amdhsa_private_segment_fixed_size 0
		.amdhsa_kernarg_size 296
		.amdhsa_user_sgpr_count 6
		.amdhsa_user_sgpr_private_segment_buffer 1
		.amdhsa_user_sgpr_dispatch_ptr 0
		.amdhsa_user_sgpr_queue_ptr 0
		.amdhsa_user_sgpr_kernarg_segment_ptr 1
		.amdhsa_user_sgpr_dispatch_id 0
		.amdhsa_user_sgpr_flat_scratch_init 0
		.amdhsa_user_sgpr_private_segment_size 0
		.amdhsa_uses_dynamic_stack 0
		.amdhsa_system_sgpr_private_segment_wavefront_offset 0
		.amdhsa_system_sgpr_workgroup_id_x 1
		.amdhsa_system_sgpr_workgroup_id_y 0
		.amdhsa_system_sgpr_workgroup_id_z 0
		.amdhsa_system_sgpr_workgroup_info 0
		.amdhsa_system_vgpr_workitem_id 1
		.amdhsa_next_free_vgpr 10
		.amdhsa_next_free_sgpr 24
		.amdhsa_reserve_vcc 1
		.amdhsa_reserve_flat_scratch 0
		.amdhsa_float_round_mode_32 0
		.amdhsa_float_round_mode_16_64 0
		.amdhsa_float_denorm_mode_32 3
		.amdhsa_float_denorm_mode_16_64 3
		.amdhsa_dx10_clamp 1
		.amdhsa_ieee_mode 1
		.amdhsa_fp16_overflow 0
		.amdhsa_exception_fp_ieee_invalid_op 0
		.amdhsa_exception_fp_denorm_src 0
		.amdhsa_exception_fp_ieee_div_zero 0
		.amdhsa_exception_fp_ieee_overflow 0
		.amdhsa_exception_fp_ieee_underflow 0
		.amdhsa_exception_fp_ieee_inexact 0
		.amdhsa_exception_int_div_zero 0
	.end_amdhsa_kernel
	.section	.text._Z14ChannelSumNCHWIiLi8ELi16EEviiiPKT_PS0_S3_,"axG",@progbits,_Z14ChannelSumNCHWIiLi8ELi16EEviiiPKT_PS0_S3_,comdat
.Lfunc_end3:
	.size	_Z14ChannelSumNCHWIiLi8ELi16EEviiiPKT_PS0_S3_, .Lfunc_end3-_Z14ChannelSumNCHWIiLi8ELi16EEviiiPKT_PS0_S3_
                                        ; -- End function
	.set _Z14ChannelSumNCHWIiLi8ELi16EEviiiPKT_PS0_S3_.num_vgpr, 10
	.set _Z14ChannelSumNCHWIiLi8ELi16EEviiiPKT_PS0_S3_.num_agpr, 0
	.set _Z14ChannelSumNCHWIiLi8ELi16EEviiiPKT_PS0_S3_.numbered_sgpr, 24
	.set _Z14ChannelSumNCHWIiLi8ELi16EEviiiPKT_PS0_S3_.num_named_barrier, 0
	.set _Z14ChannelSumNCHWIiLi8ELi16EEviiiPKT_PS0_S3_.private_seg_size, 0
	.set _Z14ChannelSumNCHWIiLi8ELi16EEviiiPKT_PS0_S3_.uses_vcc, 1
	.set _Z14ChannelSumNCHWIiLi8ELi16EEviiiPKT_PS0_S3_.uses_flat_scratch, 0
	.set _Z14ChannelSumNCHWIiLi8ELi16EEviiiPKT_PS0_S3_.has_dyn_sized_stack, 0
	.set _Z14ChannelSumNCHWIiLi8ELi16EEviiiPKT_PS0_S3_.has_recursion, 0
	.set _Z14ChannelSumNCHWIiLi8ELi16EEviiiPKT_PS0_S3_.has_indirect_call, 0
	.section	.AMDGPU.csdata,"",@progbits
; Kernel info:
; codeLenInByte = 772
; TotalNumSgprs: 28
; NumVgprs: 10
; ScratchSize: 0
; MemoryBound: 0
; FloatMode: 240
; IeeeMode: 1
; LDSByteSize: 16 bytes/workgroup (compile time only)
; SGPRBlocks: 3
; VGPRBlocks: 2
; NumSGPRsForWavesPerEU: 28
; NumVGPRsForWavesPerEU: 10
; Occupancy: 10
; WaveLimiterHint : 0
; COMPUTE_PGM_RSRC2:SCRATCH_EN: 0
; COMPUTE_PGM_RSRC2:USER_SGPR: 6
; COMPUTE_PGM_RSRC2:TRAP_HANDLER: 0
; COMPUTE_PGM_RSRC2:TGID_X_EN: 1
; COMPUTE_PGM_RSRC2:TGID_Y_EN: 0
; COMPUTE_PGM_RSRC2:TGID_Z_EN: 0
; COMPUTE_PGM_RSRC2:TIDIG_COMP_CNT: 1
	.section	.text._Z14ChannelSumNHWCIiEviiiPKT_PS0_S3_,"axG",@progbits,_Z14ChannelSumNHWCIiEviiiPKT_PS0_S3_,comdat
	.protected	_Z14ChannelSumNHWCIiEviiiPKT_PS0_S3_ ; -- Begin function _Z14ChannelSumNHWCIiEviiiPKT_PS0_S3_
	.globl	_Z14ChannelSumNHWCIiEviiiPKT_PS0_S3_
	.p2align	8
	.type	_Z14ChannelSumNHWCIiEviiiPKT_PS0_S3_,@function
_Z14ChannelSumNHWCIiEviiiPKT_PS0_S3_:   ; @_Z14ChannelSumNHWCIiEviiiPKT_PS0_S3_
; %bb.0:
	s_load_dwordx4 s[0:3], s[4:5], 0x0
	s_load_dwordx4 s[8:11], s[4:5], 0x18
	v_mov_b32_e32 v1, 0
	v_mov_b32_e32 v5, 0
	s_waitcnt lgkmcnt(0)
	s_mul_i32 s7, s2, s0
	v_cmp_gt_i32_e32 vcc, s7, v0
	s_and_saveexec_b64 s[2:3], vcc
	s_cbranch_execz .LBB4_4
; %bb.1:
	s_load_dword s0, s[4:5], 0x34
	s_load_dwordx2 s[12:13], s[4:5], 0x10
	v_mul_lo_u32 v2, v0, s1
	v_mov_b32_e32 v1, 0
	v_mov_b32_e32 v7, v0
	s_waitcnt lgkmcnt(0)
	s_and_b32 s4, s0, 0xffff
	v_add_u32_e32 v3, s6, v2
	s_mul_i32 s5, s1, s4
	s_mov_b64 s[0:1], 0
	v_mov_b32_e32 v6, s13
	v_mov_b32_e32 v5, 0
.LBB4_2:                                ; =>This Inner Loop Header: Depth=1
	v_ashrrev_i32_e32 v4, 31, v3
	v_lshlrev_b64 v[8:9], 2, v[3:4]
	v_add_u32_e32 v7, s4, v7
	v_add_co_u32_e32 v8, vcc, s12, v8
	v_addc_co_u32_e32 v9, vcc, v6, v9, vcc
	global_load_dword v2, v[8:9], off
	v_cmp_le_i32_e32 vcc, s7, v7
	s_or_b64 s[0:1], vcc, s[0:1]
	v_add_u32_e32 v3, s5, v3
	s_waitcnt vmcnt(0)
	v_add_u32_e32 v5, v2, v5
	v_mad_u64_u32 v[1:2], s[14:15], v2, v2, v[1:2]
	s_andn2_b64 exec, exec, s[0:1]
	s_cbranch_execnz .LBB4_2
; %bb.3:
	s_or_b64 exec, exec, s[0:1]
.LBB4_4:
	s_or_b64 exec, exec, s[2:3]
	v_mbcnt_lo_u32_b32 v2, -1, 0
	v_mbcnt_hi_u32_b32 v3, -1, v2
	v_lshlrev_b32_e32 v4, 2, v3
	v_add_u32_dpp v2, v5, v5 quad_perm:[1,0,3,2] row_mask:0xf bank_mask:0xf bound_ctrl:1
	v_or_b32_e32 v7, 0xfc, v4
	v_cmp_eq_u32_e32 vcc, 0, v3
	v_add_u32_dpp v2, v2, v2 quad_perm:[2,3,0,1] row_mask:0xf bank_mask:0xf bound_ctrl:1
	v_lshrrev_b32_e32 v6, 4, v0
	s_nop 0
	v_add_u32_dpp v2, v2, v2 row_ror:4 row_mask:0xf bank_mask:0xf bound_ctrl:1
	s_nop 1
	v_add_u32_dpp v2, v2, v2 row_ror:8 row_mask:0xf bank_mask:0xf bound_ctrl:1
	s_nop 1
	v_add_u32_dpp v2, v2, v2 row_bcast:15 row_mask:0xf bank_mask:0xf bound_ctrl:1
	s_nop 1
	v_add_u32_dpp v2, v2, v2 row_bcast:31 row_mask:0xf bank_mask:0xf bound_ctrl:1
	ds_bpermute_b32 v2, v7, v2
	s_and_saveexec_b64 s[0:1], vcc
	s_cbranch_execz .LBB4_6
; %bb.5:
	v_and_b32_e32 v5, 60, v6
	s_waitcnt lgkmcnt(0)
	ds_write_b32 v5, v2
.LBB4_6:
	s_or_b64 exec, exec, s[0:1]
	v_cmp_gt_u32_e64 s[0:1], 64, v0
	v_and_b32_e32 v5, 3, v3
	v_or_b32_e32 v4, 8, v4
	s_waitcnt lgkmcnt(0)
	s_barrier
	s_and_saveexec_b64 s[4:5], s[0:1]
	s_cbranch_execz .LBB4_8
; %bb.7:
	v_lshlrev_b32_e32 v2, 2, v5
	ds_read_b32 v2, v2
	v_cmp_ne_u32_e64 s[2:3], 3, v5
	v_addc_co_u32_e64 v8, s[2:3], 0, v3, s[2:3]
	v_lshlrev_b32_e32 v8, 2, v8
	s_waitcnt lgkmcnt(0)
	ds_bpermute_b32 v8, v8, v2
	s_waitcnt lgkmcnt(0)
	v_add_u32_e32 v2, v8, v2
	ds_bpermute_b32 v8, v4, v2
	s_waitcnt lgkmcnt(0)
	v_add_u32_e32 v2, v8, v2
.LBB4_8:
	s_or_b64 exec, exec, s[4:5]
	v_add_u32_dpp v1, v1, v1 quad_perm:[1,0,3,2] row_mask:0xf bank_mask:0xf bound_ctrl:1
	s_nop 1
	v_add_u32_dpp v1, v1, v1 quad_perm:[2,3,0,1] row_mask:0xf bank_mask:0xf bound_ctrl:1
	s_nop 1
	v_add_u32_dpp v1, v1, v1 row_ror:4 row_mask:0xf bank_mask:0xf bound_ctrl:1
	s_nop 1
	v_add_u32_dpp v1, v1, v1 row_ror:8 row_mask:0xf bank_mask:0xf bound_ctrl:1
	s_nop 1
	v_add_u32_dpp v1, v1, v1 row_bcast:15 row_mask:0xf bank_mask:0xf bound_ctrl:1
	s_nop 1
	v_add_u32_dpp v1, v1, v1 row_bcast:31 row_mask:0xf bank_mask:0xf bound_ctrl:1
	ds_bpermute_b32 v1, v7, v1
	s_and_saveexec_b64 s[2:3], vcc
	s_cbranch_execz .LBB4_10
; %bb.9:
	v_and_b32_e32 v6, 60, v6
	s_waitcnt lgkmcnt(0)
	ds_write_b32 v6, v1 offset:16
.LBB4_10:
	s_or_b64 exec, exec, s[2:3]
	s_waitcnt lgkmcnt(0)
	s_barrier
	s_and_saveexec_b64 s[2:3], s[0:1]
	s_cbranch_execnz .LBB4_13
; %bb.11:
	s_or_b64 exec, exec, s[2:3]
	v_cmp_eq_u32_e32 vcc, 0, v0
	s_and_saveexec_b64 s[0:1], vcc
	s_cbranch_execnz .LBB4_14
.LBB4_12:
	s_endpgm
.LBB4_13:
	v_lshlrev_b32_e32 v1, 2, v5
	ds_read_b32 v1, v1 offset:16
	v_cmp_ne_u32_e32 vcc, 3, v5
	v_addc_co_u32_e32 v3, vcc, 0, v3, vcc
	v_lshlrev_b32_e32 v3, 2, v3
	s_waitcnt lgkmcnt(0)
	ds_bpermute_b32 v3, v3, v1
	s_waitcnt lgkmcnt(0)
	v_add_u32_e32 v1, v3, v1
	ds_bpermute_b32 v3, v4, v1
	s_waitcnt lgkmcnt(0)
	v_add_u32_e32 v1, v3, v1
	s_or_b64 exec, exec, s[2:3]
	v_cmp_eq_u32_e32 vcc, 0, v0
	s_and_saveexec_b64 s[0:1], vcc
	s_cbranch_execz .LBB4_12
.LBB4_14:
	s_ashr_i32 s7, s6, 31
	s_lshl_b64 s[0:1], s[6:7], 2
	s_add_u32 s2, s10, s0
	s_addc_u32 s3, s11, s1
	s_add_u32 s0, s8, s0
	v_mov_b32_e32 v0, 0
	s_addc_u32 s1, s9, s1
	global_store_dword v0, v2, s[0:1]
	global_store_dword v0, v1, s[2:3]
	s_endpgm
	.section	.rodata,"a",@progbits
	.p2align	6, 0x0
	.amdhsa_kernel _Z14ChannelSumNHWCIiEviiiPKT_PS0_S3_
		.amdhsa_group_segment_fixed_size 32
		.amdhsa_private_segment_fixed_size 0
		.amdhsa_kernarg_size 296
		.amdhsa_user_sgpr_count 6
		.amdhsa_user_sgpr_private_segment_buffer 1
		.amdhsa_user_sgpr_dispatch_ptr 0
		.amdhsa_user_sgpr_queue_ptr 0
		.amdhsa_user_sgpr_kernarg_segment_ptr 1
		.amdhsa_user_sgpr_dispatch_id 0
		.amdhsa_user_sgpr_flat_scratch_init 0
		.amdhsa_user_sgpr_private_segment_size 0
		.amdhsa_uses_dynamic_stack 0
		.amdhsa_system_sgpr_private_segment_wavefront_offset 0
		.amdhsa_system_sgpr_workgroup_id_x 1
		.amdhsa_system_sgpr_workgroup_id_y 0
		.amdhsa_system_sgpr_workgroup_id_z 0
		.amdhsa_system_sgpr_workgroup_info 0
		.amdhsa_system_vgpr_workitem_id 0
		.amdhsa_next_free_vgpr 10
		.amdhsa_next_free_sgpr 16
		.amdhsa_reserve_vcc 1
		.amdhsa_reserve_flat_scratch 0
		.amdhsa_float_round_mode_32 0
		.amdhsa_float_round_mode_16_64 0
		.amdhsa_float_denorm_mode_32 3
		.amdhsa_float_denorm_mode_16_64 3
		.amdhsa_dx10_clamp 1
		.amdhsa_ieee_mode 1
		.amdhsa_fp16_overflow 0
		.amdhsa_exception_fp_ieee_invalid_op 0
		.amdhsa_exception_fp_denorm_src 0
		.amdhsa_exception_fp_ieee_div_zero 0
		.amdhsa_exception_fp_ieee_overflow 0
		.amdhsa_exception_fp_ieee_underflow 0
		.amdhsa_exception_fp_ieee_inexact 0
		.amdhsa_exception_int_div_zero 0
	.end_amdhsa_kernel
	.section	.text._Z14ChannelSumNHWCIiEviiiPKT_PS0_S3_,"axG",@progbits,_Z14ChannelSumNHWCIiEviiiPKT_PS0_S3_,comdat
.Lfunc_end4:
	.size	_Z14ChannelSumNHWCIiEviiiPKT_PS0_S3_, .Lfunc_end4-_Z14ChannelSumNHWCIiEviiiPKT_PS0_S3_
                                        ; -- End function
	.set _Z14ChannelSumNHWCIiEviiiPKT_PS0_S3_.num_vgpr, 10
	.set _Z14ChannelSumNHWCIiEviiiPKT_PS0_S3_.num_agpr, 0
	.set _Z14ChannelSumNHWCIiEviiiPKT_PS0_S3_.numbered_sgpr, 16
	.set _Z14ChannelSumNHWCIiEviiiPKT_PS0_S3_.num_named_barrier, 0
	.set _Z14ChannelSumNHWCIiEviiiPKT_PS0_S3_.private_seg_size, 0
	.set _Z14ChannelSumNHWCIiEviiiPKT_PS0_S3_.uses_vcc, 1
	.set _Z14ChannelSumNHWCIiEviiiPKT_PS0_S3_.uses_flat_scratch, 0
	.set _Z14ChannelSumNHWCIiEviiiPKT_PS0_S3_.has_dyn_sized_stack, 0
	.set _Z14ChannelSumNHWCIiEviiiPKT_PS0_S3_.has_recursion, 0
	.set _Z14ChannelSumNHWCIiEviiiPKT_PS0_S3_.has_indirect_call, 0
	.section	.AMDGPU.csdata,"",@progbits
; Kernel info:
; codeLenInByte = 688
; TotalNumSgprs: 20
; NumVgprs: 10
; ScratchSize: 0
; MemoryBound: 0
; FloatMode: 240
; IeeeMode: 1
; LDSByteSize: 32 bytes/workgroup (compile time only)
; SGPRBlocks: 2
; VGPRBlocks: 2
; NumSGPRsForWavesPerEU: 20
; NumVGPRsForWavesPerEU: 10
; Occupancy: 10
; WaveLimiterHint : 0
; COMPUTE_PGM_RSRC2:SCRATCH_EN: 0
; COMPUTE_PGM_RSRC2:USER_SGPR: 6
; COMPUTE_PGM_RSRC2:TRAP_HANDLER: 0
; COMPUTE_PGM_RSRC2:TGID_X_EN: 1
; COMPUTE_PGM_RSRC2:TGID_Y_EN: 0
; COMPUTE_PGM_RSRC2:TGID_Z_EN: 0
; COMPUTE_PGM_RSRC2:TIDIG_COMP_CNT: 0
	.section	.AMDGPU.gpr_maximums,"",@progbits
	.set amdgpu.max_num_vgpr, 0
	.set amdgpu.max_num_agpr, 0
	.set amdgpu.max_num_sgpr, 0
	.section	.AMDGPU.csdata,"",@progbits
	.type	__hip_cuid_d85fbad28a115fb6,@object ; @__hip_cuid_d85fbad28a115fb6
	.section	.bss,"aw",@nobits
	.globl	__hip_cuid_d85fbad28a115fb6
__hip_cuid_d85fbad28a115fb6:
	.byte	0                               ; 0x0
	.size	__hip_cuid_d85fbad28a115fb6, 1

	.ident	"AMD clang version 22.0.0git (https://github.com/RadeonOpenCompute/llvm-project roc-7.2.4 26084 f58b06dce1f9c15707c5f808fd002e18c2accf7e)"
	.section	".note.GNU-stack","",@progbits
	.addrsig
	.addrsig_sym __hip_cuid_d85fbad28a115fb6
	.amdgpu_metadata
---
amdhsa.kernels:
  - .args:
      - .offset:         0
        .size:           4
        .value_kind:     by_value
      - .offset:         4
        .size:           4
        .value_kind:     by_value
      - .offset:         8
        .size:           4
        .value_kind:     by_value
      - .address_space:  global
        .offset:         16
        .size:           8
        .value_kind:     global_buffer
      - .actual_access:  write_only
        .address_space:  global
        .offset:         24
        .size:           8
        .value_kind:     global_buffer
      - .actual_access:  write_only
        .address_space:  global
        .offset:         32
        .size:           8
        .value_kind:     global_buffer
      - .offset:         40
        .size:           4
        .value_kind:     hidden_block_count_x
      - .offset:         44
        .size:           4
        .value_kind:     hidden_block_count_y
      - .offset:         48
        .size:           4
        .value_kind:     hidden_block_count_z
      - .offset:         52
        .size:           2
        .value_kind:     hidden_group_size_x
      - .offset:         54
        .size:           2
        .value_kind:     hidden_group_size_y
      - .offset:         56
        .size:           2
        .value_kind:     hidden_group_size_z
      - .offset:         58
        .size:           2
        .value_kind:     hidden_remainder_x
      - .offset:         60
        .size:           2
        .value_kind:     hidden_remainder_y
      - .offset:         62
        .size:           2
        .value_kind:     hidden_remainder_z
      - .offset:         80
        .size:           8
        .value_kind:     hidden_global_offset_x
      - .offset:         88
        .size:           8
        .value_kind:     hidden_global_offset_y
      - .offset:         96
        .size:           8
        .value_kind:     hidden_global_offset_z
      - .offset:         104
        .size:           2
        .value_kind:     hidden_grid_dims
    .group_segment_fixed_size: 16
    .kernarg_segment_align: 8
    .kernarg_segment_size: 296
    .language:       OpenCL C
    .language_version:
      - 2
      - 0
    .max_flat_workgroup_size: 1024
    .name:           _Z14ChannelSumNCHWIiLi1ELi128EEviiiPKT_PS0_S3_
    .private_segment_fixed_size: 0
    .sgpr_count:     28
    .sgpr_spill_count: 0
    .symbol:         _Z14ChannelSumNCHWIiLi1ELi128EEviiiPKT_PS0_S3_.kd
    .uniform_work_group_size: 1
    .uses_dynamic_stack: false
    .vgpr_count:     10
    .vgpr_spill_count: 0
    .wavefront_size: 64
  - .args:
      - .offset:         0
        .size:           4
        .value_kind:     by_value
      - .offset:         4
        .size:           4
        .value_kind:     by_value
      - .offset:         8
        .size:           4
        .value_kind:     by_value
      - .address_space:  global
        .offset:         16
        .size:           8
        .value_kind:     global_buffer
      - .actual_access:  write_only
        .address_space:  global
        .offset:         24
        .size:           8
        .value_kind:     global_buffer
      - .actual_access:  write_only
        .address_space:  global
        .offset:         32
        .size:           8
        .value_kind:     global_buffer
      - .offset:         40
        .size:           4
        .value_kind:     hidden_block_count_x
      - .offset:         44
        .size:           4
        .value_kind:     hidden_block_count_y
      - .offset:         48
        .size:           4
        .value_kind:     hidden_block_count_z
      - .offset:         52
        .size:           2
        .value_kind:     hidden_group_size_x
      - .offset:         54
        .size:           2
        .value_kind:     hidden_group_size_y
      - .offset:         56
        .size:           2
        .value_kind:     hidden_group_size_z
      - .offset:         58
        .size:           2
        .value_kind:     hidden_remainder_x
      - .offset:         60
        .size:           2
        .value_kind:     hidden_remainder_y
      - .offset:         62
        .size:           2
        .value_kind:     hidden_remainder_z
      - .offset:         80
        .size:           8
        .value_kind:     hidden_global_offset_x
      - .offset:         88
        .size:           8
        .value_kind:     hidden_global_offset_y
      - .offset:         96
        .size:           8
        .value_kind:     hidden_global_offset_z
      - .offset:         104
        .size:           2
        .value_kind:     hidden_grid_dims
    .group_segment_fixed_size: 16
    .kernarg_segment_align: 8
    .kernarg_segment_size: 296
    .language:       OpenCL C
    .language_version:
      - 2
      - 0
    .max_flat_workgroup_size: 1024
    .name:           _Z14ChannelSumNCHWIiLi2ELi64EEviiiPKT_PS0_S3_
    .private_segment_fixed_size: 0
    .sgpr_count:     28
    .sgpr_spill_count: 0
    .symbol:         _Z14ChannelSumNCHWIiLi2ELi64EEviiiPKT_PS0_S3_.kd
    .uniform_work_group_size: 1
    .uses_dynamic_stack: false
    .vgpr_count:     10
    .vgpr_spill_count: 0
    .wavefront_size: 64
  - .args:
      - .offset:         0
        .size:           4
        .value_kind:     by_value
      - .offset:         4
        .size:           4
        .value_kind:     by_value
      - .offset:         8
        .size:           4
        .value_kind:     by_value
      - .address_space:  global
        .offset:         16
        .size:           8
        .value_kind:     global_buffer
      - .actual_access:  write_only
        .address_space:  global
        .offset:         24
        .size:           8
        .value_kind:     global_buffer
      - .actual_access:  write_only
        .address_space:  global
        .offset:         32
        .size:           8
        .value_kind:     global_buffer
      - .offset:         40
        .size:           4
        .value_kind:     hidden_block_count_x
      - .offset:         44
        .size:           4
        .value_kind:     hidden_block_count_y
      - .offset:         48
        .size:           4
        .value_kind:     hidden_block_count_z
      - .offset:         52
        .size:           2
        .value_kind:     hidden_group_size_x
      - .offset:         54
        .size:           2
        .value_kind:     hidden_group_size_y
      - .offset:         56
        .size:           2
        .value_kind:     hidden_group_size_z
      - .offset:         58
        .size:           2
        .value_kind:     hidden_remainder_x
      - .offset:         60
        .size:           2
        .value_kind:     hidden_remainder_y
      - .offset:         62
        .size:           2
        .value_kind:     hidden_remainder_z
      - .offset:         80
        .size:           8
        .value_kind:     hidden_global_offset_x
      - .offset:         88
        .size:           8
        .value_kind:     hidden_global_offset_y
      - .offset:         96
        .size:           8
        .value_kind:     hidden_global_offset_z
      - .offset:         104
        .size:           2
        .value_kind:     hidden_grid_dims
    .group_segment_fixed_size: 16
    .kernarg_segment_align: 8
    .kernarg_segment_size: 296
    .language:       OpenCL C
    .language_version:
      - 2
      - 0
    .max_flat_workgroup_size: 1024
    .name:           _Z14ChannelSumNCHWIiLi4ELi32EEviiiPKT_PS0_S3_
    .private_segment_fixed_size: 0
    .sgpr_count:     28
    .sgpr_spill_count: 0
    .symbol:         _Z14ChannelSumNCHWIiLi4ELi32EEviiiPKT_PS0_S3_.kd
    .uniform_work_group_size: 1
    .uses_dynamic_stack: false
    .vgpr_count:     10
    .vgpr_spill_count: 0
    .wavefront_size: 64
  - .args:
      - .offset:         0
        .size:           4
        .value_kind:     by_value
      - .offset:         4
        .size:           4
        .value_kind:     by_value
      - .offset:         8
        .size:           4
        .value_kind:     by_value
      - .address_space:  global
        .offset:         16
        .size:           8
        .value_kind:     global_buffer
      - .actual_access:  write_only
        .address_space:  global
        .offset:         24
        .size:           8
        .value_kind:     global_buffer
      - .actual_access:  write_only
        .address_space:  global
        .offset:         32
        .size:           8
        .value_kind:     global_buffer
      - .offset:         40
        .size:           4
        .value_kind:     hidden_block_count_x
      - .offset:         44
        .size:           4
        .value_kind:     hidden_block_count_y
      - .offset:         48
        .size:           4
        .value_kind:     hidden_block_count_z
      - .offset:         52
        .size:           2
        .value_kind:     hidden_group_size_x
      - .offset:         54
        .size:           2
        .value_kind:     hidden_group_size_y
      - .offset:         56
        .size:           2
        .value_kind:     hidden_group_size_z
      - .offset:         58
        .size:           2
        .value_kind:     hidden_remainder_x
      - .offset:         60
        .size:           2
        .value_kind:     hidden_remainder_y
      - .offset:         62
        .size:           2
        .value_kind:     hidden_remainder_z
      - .offset:         80
        .size:           8
        .value_kind:     hidden_global_offset_x
      - .offset:         88
        .size:           8
        .value_kind:     hidden_global_offset_y
      - .offset:         96
        .size:           8
        .value_kind:     hidden_global_offset_z
      - .offset:         104
        .size:           2
        .value_kind:     hidden_grid_dims
    .group_segment_fixed_size: 16
    .kernarg_segment_align: 8
    .kernarg_segment_size: 296
    .language:       OpenCL C
    .language_version:
      - 2
      - 0
    .max_flat_workgroup_size: 1024
    .name:           _Z14ChannelSumNCHWIiLi8ELi16EEviiiPKT_PS0_S3_
    .private_segment_fixed_size: 0
    .sgpr_count:     28
    .sgpr_spill_count: 0
    .symbol:         _Z14ChannelSumNCHWIiLi8ELi16EEviiiPKT_PS0_S3_.kd
    .uniform_work_group_size: 1
    .uses_dynamic_stack: false
    .vgpr_count:     10
    .vgpr_spill_count: 0
    .wavefront_size: 64
  - .args:
      - .offset:         0
        .size:           4
        .value_kind:     by_value
      - .offset:         4
        .size:           4
        .value_kind:     by_value
      - .offset:         8
        .size:           4
        .value_kind:     by_value
      - .address_space:  global
        .offset:         16
        .size:           8
        .value_kind:     global_buffer
      - .actual_access:  write_only
        .address_space:  global
        .offset:         24
        .size:           8
        .value_kind:     global_buffer
      - .actual_access:  write_only
        .address_space:  global
        .offset:         32
        .size:           8
        .value_kind:     global_buffer
      - .offset:         40
        .size:           4
        .value_kind:     hidden_block_count_x
      - .offset:         44
        .size:           4
        .value_kind:     hidden_block_count_y
      - .offset:         48
        .size:           4
        .value_kind:     hidden_block_count_z
      - .offset:         52
        .size:           2
        .value_kind:     hidden_group_size_x
      - .offset:         54
        .size:           2
        .value_kind:     hidden_group_size_y
      - .offset:         56
        .size:           2
        .value_kind:     hidden_group_size_z
      - .offset:         58
        .size:           2
        .value_kind:     hidden_remainder_x
      - .offset:         60
        .size:           2
        .value_kind:     hidden_remainder_y
      - .offset:         62
        .size:           2
        .value_kind:     hidden_remainder_z
      - .offset:         80
        .size:           8
        .value_kind:     hidden_global_offset_x
      - .offset:         88
        .size:           8
        .value_kind:     hidden_global_offset_y
      - .offset:         96
        .size:           8
        .value_kind:     hidden_global_offset_z
      - .offset:         104
        .size:           2
        .value_kind:     hidden_grid_dims
    .group_segment_fixed_size: 32
    .kernarg_segment_align: 8
    .kernarg_segment_size: 296
    .language:       OpenCL C
    .language_version:
      - 2
      - 0
    .max_flat_workgroup_size: 1024
    .name:           _Z14ChannelSumNHWCIiEviiiPKT_PS0_S3_
    .private_segment_fixed_size: 0
    .sgpr_count:     20
    .sgpr_spill_count: 0
    .symbol:         _Z14ChannelSumNHWCIiEviiiPKT_PS0_S3_.kd
    .uniform_work_group_size: 1
    .uses_dynamic_stack: false
    .vgpr_count:     10
    .vgpr_spill_count: 0
    .wavefront_size: 64
amdhsa.target:   amdgcn-amd-amdhsa--gfx906
amdhsa.version:
  - 1
  - 2
...

	.end_amdgpu_metadata
